;; amdgpu-corpus repo=ROCm/rocFFT kind=compiled arch=gfx1201 opt=O3
	.text
	.amdgcn_target "amdgcn-amd-amdhsa--gfx1201"
	.amdhsa_code_object_version 6
	.protected	bluestein_single_back_len350_dim1_sp_op_CI_CI ; -- Begin function bluestein_single_back_len350_dim1_sp_op_CI_CI
	.globl	bluestein_single_back_len350_dim1_sp_op_CI_CI
	.p2align	8
	.type	bluestein_single_back_len350_dim1_sp_op_CI_CI,@function
bluestein_single_back_len350_dim1_sp_op_CI_CI: ; @bluestein_single_back_len350_dim1_sp_op_CI_CI
; %bb.0:
	s_load_b128 s[12:15], s[0:1], 0x28
	v_mul_u32_u24_e32 v1, 0x51f, v0
	s_mov_b32 s2, exec_lo
	v_mov_b32_e32 v51, 0
	s_delay_alu instid0(VALU_DEP_2) | instskip(NEXT) | instid1(VALU_DEP_1)
	v_lshrrev_b32_e32 v1, 16, v1
	v_add_nc_u32_e32 v50, ttmp9, v1
	s_wait_kmcnt 0x0
	s_delay_alu instid0(VALU_DEP_1)
	v_cmpx_gt_u64_e64 s[12:13], v[50:51]
	s_cbranch_execz .LBB0_23
; %bb.1:
	s_clause 0x1
	s_load_b128 s[4:7], s[0:1], 0x18
	s_load_b64 s[12:13], s[0:1], 0x0
	v_mul_lo_u16 v1, v1, 50
	s_delay_alu instid0(VALU_DEP_1) | instskip(NEXT) | instid1(VALU_DEP_1)
	v_sub_nc_u16 v16, v0, v1
	v_and_b32_e32 v64, 0xffff, v16
	s_wait_kmcnt 0x0
	s_load_b128 s[8:11], s[4:5], 0x0
	s_wait_kmcnt 0x0
	v_mad_co_u64_u32 v[0:1], null, s10, v50, 0
	v_mad_co_u64_u32 v[2:3], null, s8, v64, 0
	s_mul_u64 s[2:3], s[8:9], 0x46
	s_delay_alu instid0(VALU_DEP_1) | instskip(NEXT) | instid1(VALU_DEP_1)
	v_mad_co_u64_u32 v[4:5], null, s11, v50, v[1:2]
	v_mov_b32_e32 v1, v4
	s_delay_alu instid0(VALU_DEP_3)
	v_mad_co_u64_u32 v[5:6], null, s9, v64, v[3:4]
	v_lshlrev_b32_e32 v63, 3, v64
	s_clause 0x2
	global_load_b64 v[51:52], v63, s[12:13]
	global_load_b64 v[53:54], v63, s[12:13] offset:560
	global_load_b64 v[55:56], v63, s[12:13] offset:1120
	v_mov_b32_e32 v3, v5
	v_lshlrev_b64_e32 v[0:1], 3, v[0:1]
	s_delay_alu instid0(VALU_DEP_2) | instskip(NEXT) | instid1(VALU_DEP_2)
	v_lshlrev_b64_e32 v[2:3], 3, v[2:3]
	v_add_co_u32 v0, vcc_lo, s14, v0
	s_delay_alu instid0(VALU_DEP_3) | instskip(SKIP_1) | instid1(VALU_DEP_2)
	v_add_co_ci_u32_e32 v1, vcc_lo, s15, v1, vcc_lo
	s_lshl_b64 s[14:15], s[2:3], 3
	v_add_co_u32 v0, vcc_lo, v0, v2
	s_wait_alu 0xfffd
	s_delay_alu instid0(VALU_DEP_2) | instskip(SKIP_1) | instid1(VALU_DEP_2)
	v_add_co_ci_u32_e32 v1, vcc_lo, v1, v3, vcc_lo
	s_wait_alu 0xfffe
	v_add_co_u32 v2, vcc_lo, v0, s14
	s_wait_alu 0xfffd
	s_delay_alu instid0(VALU_DEP_2)
	v_add_co_ci_u32_e32 v3, vcc_lo, s15, v1, vcc_lo
	global_load_b64 v[4:5], v[0:1], off
	v_add_co_u32 v0, vcc_lo, v2, s14
	s_wait_alu 0xfffd
	v_add_co_ci_u32_e32 v1, vcc_lo, s15, v3, vcc_lo
	global_load_b64 v[2:3], v[2:3], off
	v_add_co_u32 v6, vcc_lo, v0, s14
	global_load_b64 v[8:9], v[0:1], off
	s_wait_alu 0xfffd
	v_add_co_ci_u32_e32 v7, vcc_lo, s15, v1, vcc_lo
	v_add_co_u32 v0, vcc_lo, v6, s14
	s_wait_alu 0xfffd
	s_delay_alu instid0(VALU_DEP_2)
	v_add_co_ci_u32_e32 v1, vcc_lo, s15, v7, vcc_lo
	v_cmp_gt_u16_e32 vcc_lo, 20, v16
	s_wait_loadcnt 0x1
	v_dual_mul_f32 v12, v5, v52 :: v_dual_mul_f32 v15, v2, v54
	v_mul_f32_e32 v14, v3, v54
	global_load_b64 v[57:58], v63, s[12:13] offset:1680
	global_load_b64 v[6:7], v[6:7], off
	global_load_b64 v[59:60], v63, s[12:13] offset:2240
	global_load_b64 v[10:11], v[0:1], off
	s_load_b64 s[10:11], s[0:1], 0x38
	s_load_b128 s[4:7], s[6:7], 0x0
	v_mul_f32_e32 v13, v4, v52
	v_fmac_f32_e32 v12, v4, v51
	v_fmac_f32_e32 v14, v2, v53
	s_wait_loadcnt 0x4
	v_mul_f32_e32 v4, v9, v56
	v_fma_f32 v15, v3, v53, -v15
	v_mul_f32_e32 v3, v8, v56
	v_add_co_u32 v48, s2, s12, v63
	s_delay_alu instid0(VALU_DEP_1)
	v_add_co_ci_u32_e64 v49, null, s13, 0, s2
	v_fma_f32 v13, v5, v51, -v13
	s_wait_loadcnt 0x2
	v_mul_f32_e32 v2, v7, v58
	v_dual_mul_f32 v17, v6, v58 :: v_dual_fmac_f32 v4, v8, v55
	s_wait_loadcnt 0x0
	v_mul_f32_e32 v8, v11, v60
	v_mul_f32_e32 v18, v10, v60
	v_fma_f32 v5, v9, v55, -v3
	v_fmac_f32_e32 v2, v6, v57
	v_fma_f32 v3, v7, v57, -v17
	v_fmac_f32_e32 v8, v10, v59
	v_fma_f32 v9, v11, v59, -v18
	ds_store_2addr_b64 v63, v[12:13], v[14:15] offset1:70
	ds_store_2addr_b64 v63, v[4:5], v[2:3] offset0:140 offset1:210
	ds_store_b64 v63, v[8:9] offset:2240
	s_and_saveexec_b32 s3, vcc_lo
	s_cbranch_execz .LBB0_3
; %bb.2:
	v_mad_co_u64_u32 v[0:1], null, 0xfffff8d0, s8, v[0:1]
	s_mul_i32 s2, s9, 0xfffff8d0
	s_clause 0x2
	global_load_b64 v[2:3], v[48:49], off offset:400
	global_load_b64 v[4:5], v[48:49], off offset:960
	;; [unrolled: 1-line block ×3, first 2 shown]
	s_wait_alu 0xfffe
	s_sub_co_i32 s2, s2, s8
	s_wait_alu 0xfffe
	v_add_nc_u32_e32 v1, s2, v1
	v_add_co_u32 v8, s2, v0, s14
	s_wait_alu 0xf1ff
	s_delay_alu instid0(VALU_DEP_2) | instskip(NEXT) | instid1(VALU_DEP_2)
	v_add_co_ci_u32_e64 v9, s2, s15, v1, s2
	v_add_co_u32 v10, s2, v8, s14
	global_load_b64 v[0:1], v[0:1], off
	s_wait_alu 0xf1ff
	v_add_co_ci_u32_e64 v11, s2, s15, v9, s2
	v_add_co_u32 v12, s2, v10, s14
	global_load_b64 v[8:9], v[8:9], off
	s_wait_alu 0xf1ff
	v_add_co_ci_u32_e64 v13, s2, s15, v11, s2
	global_load_b64 v[10:11], v[10:11], off
	v_add_co_u32 v14, s2, v12, s14
	s_wait_alu 0xf1ff
	v_add_co_ci_u32_e64 v15, s2, s15, v13, s2
	global_load_b64 v[16:17], v[48:49], off offset:2080
	global_load_b64 v[12:13], v[12:13], off
	global_load_b64 v[18:19], v[48:49], off offset:2640
	global_load_b64 v[14:15], v[14:15], off
	v_add_nc_u32_e32 v22, 0x400, v63
	s_wait_loadcnt 0x6
	v_mul_f32_e32 v20, v1, v3
	v_mul_f32_e32 v21, v0, v3
	s_wait_loadcnt 0x5
	v_mul_f32_e32 v3, v9, v5
	v_mul_f32_e32 v5, v8, v5
	v_fmac_f32_e32 v20, v0, v2
	s_wait_loadcnt 0x4
	s_delay_alu instid0(VALU_DEP_3) | instskip(NEXT) | instid1(VALU_DEP_3)
	v_dual_mul_f32 v0, v11, v7 :: v_dual_fmac_f32 v3, v8, v4
	v_fma_f32 v4, v9, v4, -v5
	s_wait_loadcnt 0x0
	v_dual_mul_f32 v5, v13, v17 :: v_dual_mul_f32 v8, v14, v19
	s_delay_alu instid0(VALU_DEP_3)
	v_fmac_f32_e32 v0, v10, v6
	v_fma_f32 v21, v1, v2, -v21
	v_dual_mul_f32 v1, v10, v7 :: v_dual_mul_f32 v2, v12, v17
	v_mul_f32_e32 v7, v15, v19
	v_fmac_f32_e32 v5, v12, v16
	v_fma_f32 v8, v15, v18, -v8
	s_delay_alu instid0(VALU_DEP_4)
	v_fma_f32 v1, v11, v6, -v1
	v_fma_f32 v6, v13, v16, -v2
	v_fmac_f32_e32 v7, v14, v18
	ds_store_2addr_b64 v63, v[20:21], v[3:4] offset0:50 offset1:120
	ds_store_2addr_b64 v22, v[0:1], v[5:6] offset0:62 offset1:132
	ds_store_b64 v63, v[7:8] offset:2640
.LBB0_3:
	s_wait_alu 0xfffe
	s_or_b32 exec_lo, exec_lo, s3
	global_wb scope:SCOPE_SE
	s_wait_dscnt 0x0
	s_wait_kmcnt 0x0
	s_barrier_signal -1
	s_barrier_wait -1
	global_inv scope:SCOPE_SE
	ds_load_2addr_b64 v[8:11], v63 offset1:70
	ds_load_2addr_b64 v[12:15], v63 offset0:140 offset1:210
	ds_load_b64 v[18:19], v63 offset:2240
	s_load_b64 s[2:3], s[0:1], 0x8
                                        ; implicit-def: $vgpr4
                                        ; implicit-def: $vgpr0
                                        ; implicit-def: $vgpr16
	s_and_saveexec_b32 s0, vcc_lo
	s_cbranch_execz .LBB0_5
; %bb.4:
	v_add_nc_u32_e32 v0, 0x400, v63
	ds_load_2addr_b64 v[4:7], v63 offset0:50 offset1:120
	ds_load_2addr_b64 v[0:3], v0 offset0:62 offset1:132
	ds_load_b64 v[16:17], v63 offset:2640
.LBB0_5:
	s_wait_alu 0xfffe
	s_or_b32 exec_lo, exec_lo, s0
	s_wait_dscnt 0x0
	v_dual_add_f32 v20, v12, v14 :: v_dual_sub_f32 v23, v11, v19
	v_dual_add_f32 v21, v8, v10 :: v_dual_sub_f32 v24, v10, v12
	v_add_f32_e32 v26, v10, v18
	s_delay_alu instid0(VALU_DEP_3) | instskip(SKIP_1) | instid1(VALU_DEP_4)
	v_fma_f32 v20, -0.5, v20, v8
	v_sub_f32_e32 v25, v18, v14
	v_add_f32_e32 v21, v21, v12
	v_mul_lo_u16 v38, v64, 5
	v_add_co_u32 v36, null, v64, 50
	s_delay_alu instid0(VALU_DEP_4)
	v_dual_fmamk_f32 v22, v23, 0x3f737871, v20 :: v_dual_add_f32 v25, v24, v25
	v_fma_f32 v24, -0.5, v26, v8
	v_add_f32_e32 v8, v21, v14
	v_sub_f32_e32 v27, v13, v15
	v_dual_fmac_f32 v20, 0xbf737871, v23 :: v_dual_sub_f32 v21, v14, v18
	v_mul_u32_u24_e32 v65, 5, v36
	s_delay_alu instid0(VALU_DEP_4)
	v_add_f32_e32 v30, v8, v18
	v_sub_f32_e32 v8, v12, v10
	v_sub_f32_e32 v12, v12, v14
	v_add_f32_e32 v28, v13, v15
	v_fmac_f32_e32 v22, 0x3f167918, v27
	v_fmamk_f32 v26, v27, 0xbf737871, v24
	v_fmac_f32_e32 v20, 0xbf167918, v27
	v_add_f32_e32 v8, v8, v21
	v_fma_f32 v21, -0.5, v28, v9
	v_sub_f32_e32 v10, v10, v18
	v_fmac_f32_e32 v24, 0x3f737871, v27
	v_add_f32_e32 v27, v9, v11
	v_fmac_f32_e32 v26, 0x3f167918, v23
	v_sub_f32_e32 v14, v11, v13
	global_wb scope:SCOPE_SE
	v_dual_fmac_f32 v24, 0xbf167918, v23 :: v_dual_add_f32 v23, v27, v13
	v_fmac_f32_e32 v26, 0x3e9e377a, v8
	v_dual_fmac_f32 v22, 0x3e9e377a, v25 :: v_dual_sub_f32 v27, v19, v15
	s_delay_alu instid0(VALU_DEP_3) | instskip(NEXT) | instid1(VALU_DEP_4)
	v_fmac_f32_e32 v24, 0x3e9e377a, v8
	v_add_f32_e32 v8, v23, v15
	s_wait_kmcnt 0x0
	s_barrier_signal -1
	s_barrier_wait -1
	global_inv scope:SCOPE_SE
	v_sub_f32_e32 v29, v17, v3
	v_add_f32_e32 v31, v8, v19
	v_fmamk_f32 v23, v10, 0xbf737871, v21
	v_dual_fmac_f32 v21, 0x3f737871, v10 :: v_dual_add_f32 v8, v14, v27
	v_sub_f32_e32 v37, v3, v17
	s_delay_alu instid0(VALU_DEP_2) | instskip(NEXT) | instid1(VALU_DEP_1)
	v_fmac_f32_e32 v21, 0x3f167918, v12
	v_fmac_f32_e32 v21, 0x3e9e377a, v8
	v_dual_fmac_f32 v23, 0xbf167918, v12 :: v_dual_add_f32 v18, v11, v19
	s_delay_alu instid0(VALU_DEP_1) | instskip(NEXT) | instid1(VALU_DEP_2)
	v_dual_fmac_f32 v20, 0x3e9e377a, v25 :: v_dual_fmac_f32 v23, 0x3e9e377a, v8
	v_fma_f32 v25, -0.5, v18, v9
	v_sub_f32_e32 v9, v13, v11
	v_sub_f32_e32 v11, v15, v19
	v_add_f32_e32 v13, v0, v2
	v_sub_f32_e32 v15, v16, v2
	v_fmamk_f32 v27, v12, 0x3f737871, v25
	s_delay_alu instid0(VALU_DEP_4) | instskip(NEXT) | instid1(VALU_DEP_4)
	v_dual_fmac_f32 v25, 0xbf737871, v12 :: v_dual_add_f32 v14, v9, v11
	v_fma_f32 v8, -0.5, v13, v4
	v_sub_f32_e32 v13, v6, v0
	s_delay_alu instid0(VALU_DEP_4) | instskip(SKIP_2) | instid1(VALU_DEP_4)
	v_fmac_f32_e32 v27, 0xbf167918, v10
	v_dual_sub_f32 v9, v7, v17 :: v_dual_add_f32 v12, v6, v16
	v_sub_f32_e32 v11, v1, v3
	v_dual_fmac_f32 v25, 0x3f167918, v10 :: v_dual_add_f32 v10, v13, v15
	s_delay_alu instid0(VALU_DEP_3) | instskip(SKIP_3) | instid1(VALU_DEP_4)
	v_dual_fmamk_f32 v28, v9, 0xbf737871, v8 :: v_dual_sub_f32 v13, v2, v16
	v_fmac_f32_e32 v27, 0x3e9e377a, v14
	v_fma_f32 v32, -0.5, v12, v4
	v_dual_sub_f32 v12, v0, v6 :: v_dual_sub_f32 v19, v7, v1
	v_fmac_f32_e32 v28, 0xbf167918, v11
	v_dual_fmac_f32 v25, 0x3e9e377a, v14 :: v_dual_add_f32 v14, v1, v3
	s_delay_alu instid0(VALU_DEP_4) | instskip(NEXT) | instid1(VALU_DEP_4)
	v_dual_fmamk_f32 v34, v11, 0xbf737871, v32 :: v_dual_sub_f32 v15, v6, v16
	v_add_f32_e32 v18, v12, v13
	s_delay_alu instid0(VALU_DEP_4) | instskip(SKIP_3) | instid1(VALU_DEP_4)
	v_dual_add_f32 v13, v7, v17 :: v_dual_fmac_f32 v28, 0x3e9e377a, v10
	v_fmac_f32_e32 v32, 0x3f737871, v11
	v_fma_f32 v12, -0.5, v14, v5
	v_sub_f32_e32 v14, v0, v2
	v_fma_f32 v33, -0.5, v13, v5
	v_fmac_f32_e32 v34, 0x3f167918, v9
	v_add_f32_e32 v13, v19, v29
	v_sub_f32_e32 v19, v1, v7
	v_fmamk_f32 v29, v15, 0x3f737871, v12
	v_fmamk_f32 v35, v14, 0x3f737871, v33
	v_fmac_f32_e32 v32, 0xbf167918, v9
	v_fmac_f32_e32 v33, 0xbf737871, v14
	v_dual_fmac_f32 v34, 0x3e9e377a, v18 :: v_dual_add_f32 v19, v19, v37
	v_fmac_f32_e32 v29, 0x3f167918, v14
	v_fmac_f32_e32 v35, 0xbf167918, v15
	s_delay_alu instid0(VALU_DEP_4) | instskip(SKIP_4) | instid1(VALU_DEP_3)
	v_fmac_f32_e32 v33, 0x3f167918, v15
	v_fmac_f32_e32 v32, 0x3e9e377a, v18
	v_and_b32_e32 v18, 0xffff, v38
	v_fmac_f32_e32 v29, 0x3e9e377a, v13
	v_fmac_f32_e32 v35, 0x3e9e377a, v19
	v_dual_fmac_f32 v33, 0x3e9e377a, v19 :: v_dual_lshlrev_b32 v66, 3, v18
	ds_store_2addr_b64 v66, v[30:31], v[22:23] offset1:1
	ds_store_2addr_b64 v66, v[26:27], v[24:25] offset0:2 offset1:3
	ds_store_b64 v66, v[20:21] offset:32
	s_and_saveexec_b32 s0, vcc_lo
	s_cbranch_execz .LBB0_7
; %bb.6:
	v_dual_mul_f32 v9, 0x3f737871, v9 :: v_dual_add_f32 v4, v4, v6
	v_mul_f32_e32 v15, 0x3f737871, v15
	v_add_f32_e32 v5, v5, v7
	v_dual_mul_f32 v11, 0x3f167918, v11 :: v_dual_mul_f32 v6, 0x3f167918, v14
	s_delay_alu instid0(VALU_DEP_4) | instskip(NEXT) | instid1(VALU_DEP_4)
	v_dual_add_f32 v0, v4, v0 :: v_dual_mul_f32 v7, 0x3e9e377a, v10
	v_sub_f32_e32 v10, v12, v15
	v_mul_f32_e32 v4, 0x3e9e377a, v13
	s_delay_alu instid0(VALU_DEP_3) | instskip(NEXT) | instid1(VALU_DEP_3)
	v_dual_add_f32 v1, v5, v1 :: v_dual_add_f32 v2, v0, v2
	v_dual_add_f32 v5, v8, v9 :: v_dual_sub_f32 v6, v10, v6
	s_delay_alu instid0(VALU_DEP_2) | instskip(NEXT) | instid1(VALU_DEP_2)
	v_dual_add_f32 v3, v1, v3 :: v_dual_add_f32 v2, v2, v16
	v_add_f32_e32 v5, v11, v5
	s_delay_alu instid0(VALU_DEP_3) | instskip(NEXT) | instid1(VALU_DEP_3)
	v_dual_add_f32 v1, v4, v6 :: v_dual_lshlrev_b32 v4, 3, v65
	v_add_f32_e32 v3, v3, v17
	s_delay_alu instid0(VALU_DEP_3)
	v_add_f32_e32 v0, v7, v5
	ds_store_2addr_b64 v4, v[2:3], v[0:1] offset1:1
	ds_store_2addr_b64 v4, v[34:35], v[32:33] offset0:2 offset1:3
	ds_store_b64 v4, v[28:29] offset:32
.LBB0_7:
	s_wait_alu 0xfffe
	s_or_b32 exec_lo, exec_lo, s0
	v_and_b32_e32 v0, 0xff, v64
	global_wb scope:SCOPE_SE
	s_wait_dscnt 0x0
	s_barrier_signal -1
	s_barrier_wait -1
	global_inv scope:SCOPE_SE
	v_mul_lo_u16 v0, 0xcd, v0
	v_cmp_gt_u16_e64 s0, 35, v64
	s_delay_alu instid0(VALU_DEP_2) | instskip(NEXT) | instid1(VALU_DEP_1)
	v_lshrrev_b16 v24, 10, v0
	v_mul_lo_u16 v0, v24, 5
	s_delay_alu instid0(VALU_DEP_1) | instskip(NEXT) | instid1(VALU_DEP_1)
	v_sub_nc_u16 v0, v64, v0
	v_and_b32_e32 v26, 0xff, v0
	s_delay_alu instid0(VALU_DEP_1) | instskip(NEXT) | instid1(VALU_DEP_1)
	v_mul_u32_u24_e32 v0, 6, v26
	v_lshlrev_b32_e32 v0, 3, v0
	s_clause 0x2
	global_load_b128 v[8:11], v0, s[2:3]
	global_load_b128 v[4:7], v0, s[2:3] offset:16
	global_load_b128 v[0:3], v0, s[2:3] offset:32
	ds_load_2addr_b64 v[12:15], v63 offset1:50
	ds_load_2addr_b64 v[16:19], v63 offset0:100 offset1:150
	ds_load_2addr_b64 v[20:23], v63 offset0:200 offset1:250
	v_and_b32_e32 v27, 0xffff, v24
	ds_load_b64 v[24:25], v63 offset:2400
	global_wb scope:SCOPE_SE
	s_wait_loadcnt_dscnt 0x0
	s_barrier_signal -1
	s_barrier_wait -1
	v_mul_u32_u24_e32 v27, 35, v27
	global_inv scope:SCOPE_SE
	v_mul_f32_e32 v30, v17, v11
	v_mul_f32_e32 v31, v16, v11
	;; [unrolled: 1-line block ×3, first 2 shown]
	v_add_lshl_u32 v67, v27, v26, 3
	v_mul_f32_e32 v27, v14, v9
	v_mul_f32_e32 v37, v18, v5
	v_dual_mul_f32 v40, v23, v1 :: v_dual_mul_f32 v43, v24, v3
	v_mul_f32_e32 v26, v15, v9
	v_dual_mul_f32 v36, v19, v5 :: v_dual_mul_f32 v39, v20, v7
	v_dual_mul_f32 v38, v21, v7 :: v_dual_fmac_f32 v27, v15, v8
	v_dual_mul_f32 v42, v25, v3 :: v_dual_fmac_f32 v37, v19, v4
	v_fma_f32 v15, v16, v10, -v30
	v_fma_f32 v19, v22, v0, -v40
	;; [unrolled: 1-line block ×5, first 2 shown]
	s_delay_alu instid0(VALU_DEP_4)
	v_dual_fmac_f32 v43, v25, v2 :: v_dual_add_f32 v22, v15, v19
	v_fmac_f32_e32 v31, v17, v10
	v_fmac_f32_e32 v41, v23, v0
	v_fma_f32 v17, v20, v6, -v38
	v_add_f32_e32 v20, v14, v18
	v_fmac_f32_e32 v39, v21, v6
	v_dual_add_f32 v21, v27, v43 :: v_dual_sub_f32 v14, v14, v18
	v_sub_f32_e32 v18, v27, v43
	v_add_f32_e32 v23, v31, v41
	v_dual_sub_f32 v15, v15, v19 :: v_dual_add_f32 v26, v22, v20
	v_dual_sub_f32 v19, v31, v41 :: v_dual_sub_f32 v30, v22, v20
	v_dual_add_f32 v24, v16, v17 :: v_dual_add_f32 v25, v37, v39
	v_dual_sub_f32 v16, v17, v16 :: v_dual_sub_f32 v17, v39, v37
	v_add_f32_e32 v27, v23, v21
	s_delay_alu instid0(VALU_DEP_3) | instskip(NEXT) | instid1(VALU_DEP_3)
	v_dual_sub_f32 v31, v23, v21 :: v_dual_sub_f32 v20, v20, v24
	v_dual_sub_f32 v38, v16, v15 :: v_dual_sub_f32 v21, v21, v25
	;; [unrolled: 1-line block ×3, first 2 shown]
	v_add_f32_e32 v24, v24, v26
	v_add_f32_e32 v36, v16, v15
	;; [unrolled: 1-line block ×3, first 2 shown]
	v_dual_sub_f32 v39, v17, v19 :: v_dual_mul_f32 v20, 0x3f4a47b2, v20
	v_sub_f32_e32 v15, v15, v14
	v_dual_add_f32 v25, v25, v27 :: v_dual_mul_f32 v26, 0x3d64c772, v22
	v_sub_f32_e32 v16, v14, v16
	v_dual_add_f32 v14, v36, v14 :: v_dual_sub_f32 v17, v18, v17
	v_dual_mul_f32 v38, 0xbf08b237, v38 :: v_dual_mul_f32 v39, 0xbf08b237, v39
	v_dual_add_f32 v36, v12, v24 :: v_dual_sub_f32 v19, v19, v18
	v_mul_f32_e32 v40, 0x3f5ff5aa, v15
	v_add_f32_e32 v18, v37, v18
	v_add_f32_e32 v37, v13, v25
	v_dual_mul_f32 v27, 0x3d64c772, v23 :: v_dual_fmamk_f32 v12, v22, 0x3d64c772, v20
	v_fma_f32 v22, 0x3f3bfb3b, v30, -v26
	v_fmamk_f32 v26, v16, 0x3eae86e6, v38
	v_fma_f32 v15, 0x3f5ff5aa, v15, -v38
	v_fma_f32 v16, 0xbeae86e6, v16, -v40
	v_dual_fmamk_f32 v24, v24, 0xbf955555, v36 :: v_dual_fmamk_f32 v25, v25, 0xbf955555, v37
	v_mul_f32_e32 v21, 0x3f4a47b2, v21
	v_mul_f32_e32 v41, 0x3f5ff5aa, v19
	v_fma_f32 v19, 0x3f5ff5aa, v19, -v39
	v_fma_f32 v20, 0xbf3bfb3b, v30, -v20
	s_delay_alu instid0(VALU_DEP_4)
	v_dual_add_f32 v12, v12, v24 :: v_dual_fmamk_f32 v13, v23, 0x3d64c772, v21
	v_fma_f32 v23, 0x3f3bfb3b, v31, -v27
	v_fma_f32 v21, 0xbf3bfb3b, v31, -v21
	v_fmac_f32_e32 v26, 0x3ee1c552, v14
	v_fmac_f32_e32 v15, 0x3ee1c552, v14
	;; [unrolled: 1-line block ×4, first 2 shown]
	v_dual_add_f32 v14, v22, v24 :: v_dual_fmamk_f32 v27, v17, 0x3eae86e6, v39
	v_fma_f32 v17, 0xbeae86e6, v17, -v41
	s_delay_alu instid0(VALU_DEP_2) | instskip(NEXT) | instid1(VALU_DEP_2)
	v_dual_sub_f32 v42, v14, v19 :: v_dual_fmac_f32 v27, 0x3ee1c552, v18
	v_dual_fmac_f32 v17, 0x3ee1c552, v18 :: v_dual_add_f32 v18, v20, v24
	v_add_f32_e32 v13, v13, v25
	v_add_f32_e32 v20, v21, v25
	s_delay_alu instid0(VALU_DEP_4) | instskip(NEXT) | instid1(VALU_DEP_3)
	v_dual_sub_f32 v30, v12, v27 :: v_dual_add_f32 v21, v23, v25
	v_dual_add_f32 v38, v27, v12 :: v_dual_sub_f32 v39, v13, v26
	s_delay_alu instid0(VALU_DEP_3) | instskip(NEXT) | instid1(VALU_DEP_3)
	v_dual_add_f32 v40, v17, v18 :: v_dual_sub_f32 v41, v20, v16
	v_add_f32_e32 v43, v15, v21
	v_dual_sub_f32 v45, v21, v15 :: v_dual_sub_f32 v46, v18, v17
	v_dual_add_f32 v44, v19, v14 :: v_dual_add_f32 v47, v16, v20
	v_add_f32_e32 v31, v26, v13
	ds_store_2addr_b64 v67, v[36:37], v[38:39] offset1:5
	ds_store_2addr_b64 v67, v[40:41], v[42:43] offset0:10 offset1:15
	ds_store_2addr_b64 v67, v[44:45], v[46:47] offset0:20 offset1:25
	ds_store_b64 v67, v[30:31] offset:240
	global_wb scope:SCOPE_SE
	s_wait_dscnt 0x0
	s_barrier_signal -1
	s_barrier_wait -1
	global_inv scope:SCOPE_SE
	s_and_saveexec_b32 s1, s0
	s_cbranch_execz .LBB0_9
; %bb.8:
	v_add_nc_u32_e32 v12, 0x800, v63
	ds_load_2addr_b64 v[30:33], v63 offset0:210 offset1:245
	ds_load_2addr_b64 v[26:29], v12 offset0:24 offset1:59
	ds_load_2addr_b64 v[36:39], v63 offset1:35
	ds_load_2addr_b64 v[40:43], v63 offset0:70 offset1:105
	ds_load_2addr_b64 v[44:47], v63 offset0:140 offset1:175
	s_wait_dscnt 0x4
	v_dual_mov_b32 v35, v33 :: v_dual_mov_b32 v34, v32
	s_wait_dscnt 0x3
	v_dual_mov_b32 v33, v27 :: v_dual_mov_b32 v32, v26
.LBB0_9:
	s_wait_alu 0xfffe
	s_or_b32 exec_lo, exec_lo, s1
	v_subrev_nc_u32_e32 v12, 35, v64
	s_delay_alu instid0(VALU_DEP_1) | instskip(NEXT) | instid1(VALU_DEP_1)
	v_cndmask_b32_e64 v12, v12, v64, s0
	v_mul_i32_i24_e32 v13, 0x48, v12
	v_mul_hi_i32_i24_e32 v12, 0x48, v12
	s_delay_alu instid0(VALU_DEP_2) | instskip(SKIP_1) | instid1(VALU_DEP_2)
	v_add_co_u32 v61, s1, s2, v13
	s_wait_alu 0xf1ff
	v_add_co_ci_u32_e64 v62, s1, s3, v12, s1
	s_clause 0x4
	global_load_b128 v[16:19], v[61:62], off offset:240
	global_load_b128 v[12:15], v[61:62], off offset:256
	;; [unrolled: 1-line block ×4, first 2 shown]
	global_load_b64 v[61:62], v[61:62], off offset:304
	s_wait_loadcnt_dscnt 0x401
	v_dual_mul_f32 v68, v39, v17 :: v_dual_mul_f32 v69, v41, v19
	s_wait_loadcnt 0x3
	v_dual_mul_f32 v70, v40, v19 :: v_dual_mul_f32 v71, v43, v13
	s_wait_loadcnt 0x1
	v_dual_mul_f32 v80, v35, v21 :: v_dual_mul_f32 v83, v32, v23
	v_dual_mul_f32 v81, v34, v21 :: v_dual_mul_f32 v82, v33, v23
	s_wait_dscnt 0x0
	v_dual_mul_f32 v72, v38, v17 :: v_dual_mul_f32 v75, v44, v15
	v_dual_mul_f32 v73, v42, v13 :: v_dual_mul_f32 v74, v45, v15
	;; [unrolled: 1-line block ×4, first 2 shown]
	s_wait_loadcnt 0x0
	s_delay_alu instid0(VALU_DEP_3)
	v_dual_mul_f32 v84, v29, v62 :: v_dual_fmac_f32 v73, v43, v12
	v_fma_f32 v86, v38, v16, -v68
	v_fma_f32 v38, v40, v18, -v69
	v_dual_fmac_f32 v70, v41, v18 :: v_dual_fmac_f32 v77, v47, v24
	v_fma_f32 v32, v32, v22, -v82
	v_fmac_f32_e32 v83, v33, v22
	v_dual_mul_f32 v85, v28, v62 :: v_dual_fmac_f32 v72, v39, v16
	v_fma_f32 v39, v42, v12, -v71
	v_fma_f32 v40, v44, v14, -v74
	;; [unrolled: 1-line block ×4, first 2 shown]
	v_fmac_f32_e32 v79, v31, v26
	v_fma_f32 v31, v34, v20, -v80
	v_sub_f32_e32 v42, v38, v40
	v_fma_f32 v28, v28, v61, -v84
	v_dual_add_f32 v44, v38, v32 :: v_dual_fmac_f32 v75, v45, v14
	v_dual_sub_f32 v34, v70, v83 :: v_dual_fmac_f32 v81, v35, v20
	v_dual_fmac_f32 v85, v29, v61 :: v_dual_sub_f32 v46, v30, v32
	s_delay_alu instid0(VALU_DEP_3)
	v_dual_add_f32 v29, v36, v38 :: v_dual_add_f32 v68, v75, v79
	v_dual_add_f32 v33, v40, v30 :: v_dual_sub_f32 v76, v83, v79
	v_dual_sub_f32 v43, v32, v30 :: v_dual_add_f32 v78, v70, v83
	v_dual_sub_f32 v45, v40, v38 :: v_dual_sub_f32 v80, v79, v83
	v_dual_add_f32 v47, v37, v70 :: v_dual_add_f32 v82, v86, v39
	v_dual_sub_f32 v71, v40, v30 :: v_dual_add_f32 v84, v41, v31
	v_dual_sub_f32 v74, v70, v75 :: v_dual_add_f32 v91, v39, v28
	v_add_f32_e32 v94, v72, v73
	v_dual_add_f32 v95, v77, v81 :: v_dual_sub_f32 v96, v39, v28
	v_dual_sub_f32 v35, v75, v79 :: v_dual_sub_f32 v88, v77, v81
	v_dual_sub_f32 v69, v38, v32 :: v_dual_sub_f32 v70, v75, v70
	;; [unrolled: 1-line block ×4, first 2 shown]
	v_sub_f32_e32 v97, v41, v31
	v_sub_f32_e32 v99, v85, v81
	v_add_f32_e32 v100, v73, v85
	v_sub_f32_e32 v101, v81, v85
	v_add_f32_e32 v29, v29, v40
	v_fma_f32 v38, -0.5, v33, v36
	v_dual_add_f32 v33, v42, v43 :: v_dual_fmac_f32 v36, -0.5, v44
	v_dual_add_f32 v44, v45, v46 :: v_dual_add_f32 v45, v74, v76
	v_add_f32_e32 v42, v47, v75
	v_fma_f32 v39, -0.5, v68, v37
	v_dual_fmac_f32 v37, -0.5, v78 :: v_dual_add_f32 v46, v82, v41
	v_fma_f32 v78, -0.5, v84, v86
	v_fmac_f32_e32 v86, -0.5, v91
	v_fma_f32 v76, -0.5, v95, v72
	v_fmac_f32_e32 v72, -0.5, v100
	v_dual_sub_f32 v93, v31, v28 :: v_dual_sub_f32 v98, v73, v77
	v_dual_sub_f32 v73, v77, v73 :: v_dual_add_f32 v70, v70, v80
	v_add_f32_e32 v47, v94, v77
	v_add_f32_e32 v29, v29, v30
	v_dual_fmamk_f32 v41, v35, 0xbf737871, v36 :: v_dual_add_f32 v30, v42, v79
	v_dual_fmac_f32 v36, 0x3f737871, v35 :: v_dual_fmamk_f32 v43, v71, 0x3f737871, v37
	v_dual_fmac_f32 v37, 0xbf737871, v71 :: v_dual_fmamk_f32 v80, v88, 0xbf737871, v86
	v_dual_add_f32 v31, v46, v31 :: v_dual_fmamk_f32 v82, v96, 0xbf737871, v76
	v_dual_fmamk_f32 v79, v87, 0x3f737871, v78 :: v_dual_add_f32 v46, v29, v32
	v_fmac_f32_e32 v76, 0x3f737871, v96
	v_dual_add_f32 v74, v89, v90 :: v_dual_add_f32 v75, v92, v93
	v_dual_add_f32 v77, v98, v99 :: v_dual_fmamk_f32 v42, v69, 0xbf737871, v39
	v_dual_add_f32 v73, v73, v101 :: v_dual_fmamk_f32 v40, v34, 0x3f737871, v38
	v_fmac_f32_e32 v38, 0xbf737871, v34
	v_dual_fmac_f32 v78, 0xbf737871, v87 :: v_dual_add_f32 v81, v47, v81
	v_dual_fmac_f32 v37, 0x3f167918, v69 :: v_dual_fmac_f32 v80, 0x3f167918, v87
	v_dual_fmac_f32 v79, 0x3f167918, v88 :: v_dual_fmac_f32 v76, 0x3f167918, v97
	;; [unrolled: 1-line block ×3, first 2 shown]
	v_dual_fmamk_f32 v84, v97, 0x3f737871, v72 :: v_dual_add_f32 v47, v30, v83
	v_dual_fmac_f32 v40, 0x3f167918, v35 :: v_dual_fmac_f32 v41, 0x3f167918, v34
	v_dual_fmac_f32 v38, 0xbf167918, v35 :: v_dual_fmac_f32 v43, 0xbf167918, v69
	v_dual_fmac_f32 v36, 0xbf167918, v34 :: v_dual_add_f32 v69, v81, v85
	v_fmac_f32_e32 v42, 0xbf167918, v71
	v_dual_fmac_f32 v79, 0x3e9e377a, v74 :: v_dual_fmac_f32 v80, 0x3e9e377a, v75
	v_fmac_f32_e32 v78, 0xbf167918, v88
	v_fmac_f32_e32 v76, 0x3e9e377a, v77
	v_dual_fmac_f32 v39, 0x3f167918, v71 :: v_dual_add_f32 v68, v31, v28
	v_dual_fmac_f32 v40, 0x3e9e377a, v33 :: v_dual_fmac_f32 v41, 0x3e9e377a, v44
	v_dual_fmac_f32 v38, 0x3e9e377a, v33 :: v_dual_fmac_f32 v43, 0x3e9e377a, v70
	v_fmac_f32_e32 v37, 0x3e9e377a, v70
	v_fmac_f32_e32 v82, 0xbf167918, v97
	v_dual_fmac_f32 v78, 0x3e9e377a, v74 :: v_dual_sub_f32 v29, v47, v69
	v_fmac_f32_e32 v42, 0x3e9e377a, v45
	v_mul_f32_e32 v33, 0x3f4f1bbd, v76
	v_dual_fmac_f32 v36, 0x3e9e377a, v44 :: v_dual_fmac_f32 v39, 0x3e9e377a, v45
	v_fmac_f32_e32 v82, 0x3e9e377a, v77
	v_mul_f32_e32 v74, 0xbf737871, v80
	s_delay_alu instid0(VALU_DEP_4) | instskip(SKIP_3) | instid1(VALU_DEP_4)
	v_fma_f32 v77, 0xbf167918, v78, -v33
	v_fmac_f32_e32 v84, 0xbf167918, v96
	v_dual_sub_f32 v28, v46, v68 :: v_dual_mul_f32 v31, 0x3f4f1bbd, v78
	v_mul_f32_e32 v71, 0x3f167918, v82
	v_sub_f32_e32 v45, v39, v77
	s_delay_alu instid0(VALU_DEP_4) | instskip(NEXT) | instid1(VALU_DEP_1)
	v_fmac_f32_e32 v84, 0x3e9e377a, v73
	v_fmac_f32_e32 v74, 0x3e9e377a, v84
	;; [unrolled: 1-line block ×3, first 2 shown]
	s_delay_alu instid0(VALU_DEP_2) | instskip(NEXT) | instid1(VALU_DEP_2)
	v_dual_mul_f32 v70, 0x3f737871, v84 :: v_dual_sub_f32 v33, v43, v74
	v_fmac_f32_e32 v72, 0x3f167918, v96
	s_delay_alu instid0(VALU_DEP_2) | instskip(SKIP_1) | instid1(VALU_DEP_3)
	v_fmac_f32_e32 v70, 0x3e9e377a, v80
	v_fmac_f32_e32 v71, 0x3f4f1bbd, v79
	;; [unrolled: 1-line block ×3, first 2 shown]
	v_mul_f32_e32 v73, 0xbf167918, v79
	s_delay_alu instid0(VALU_DEP_2) | instskip(NEXT) | instid1(VALU_DEP_2)
	v_mul_f32_e32 v32, 0x3e9e377a, v72
	v_fmac_f32_e32 v73, 0x3f4f1bbd, v82
	v_fmac_f32_e32 v86, 0xbf167918, v87
	s_delay_alu instid0(VALU_DEP_1) | instskip(NEXT) | instid1(VALU_DEP_1)
	v_fmac_f32_e32 v86, 0x3e9e377a, v75
	v_mul_f32_e32 v30, 0x3e9e377a, v86
	s_delay_alu instid0(VALU_DEP_1)
	v_fma_f32 v75, 0x3f737871, v72, -v30
	v_fma_f32 v72, 0x3f167918, v76, -v31
	;; [unrolled: 1-line block ×3, first 2 shown]
	v_sub_f32_e32 v32, v41, v70
	v_sub_f32_e32 v30, v40, v71
	v_dual_sub_f32 v34, v36, v75 :: v_dual_sub_f32 v31, v42, v73
	v_sub_f32_e32 v44, v38, v72
	v_sub_f32_e32 v35, v37, v76
	s_and_saveexec_b32 s1, s0
	s_cbranch_execz .LBB0_11
; %bb.10:
	v_add_f32_e32 v37, v37, v76
	v_dual_add_f32 v43, v43, v74 :: v_dual_add_f32 v46, v46, v68
	v_add_f32_e32 v74, v42, v73
	v_dual_add_f32 v47, v47, v69 :: v_dual_add_f32 v42, v41, v70
	v_dual_add_f32 v73, v40, v71 :: v_dual_add_f32 v38, v38, v72
	;; [unrolled: 1-line block ×3, first 2 shown]
	v_add_nc_u32_e32 v40, 0x800, v63
	ds_store_2addr_b64 v63, v[46:47], v[73:74] offset1:35
	ds_store_2addr_b64 v63, v[42:43], v[36:37] offset0:70 offset1:105
	ds_store_2addr_b64 v63, v[38:39], v[28:29] offset0:140 offset1:175
	;; [unrolled: 1-line block ×4, first 2 shown]
.LBB0_11:
	s_wait_alu 0xfffe
	s_or_b32 exec_lo, exec_lo, s1
	s_add_nc_u64 s[2:3], s[12:13], 0xaf0
	global_wb scope:SCOPE_SE
	s_wait_dscnt 0x0
	s_barrier_signal -1
	s_barrier_wait -1
	global_inv scope:SCOPE_SE
	s_clause 0x4
	global_load_b64 v[40:41], v[48:49], off offset:2800
	global_load_b64 v[42:43], v63, s[2:3] offset:560
	global_load_b64 v[46:47], v63, s[2:3] offset:1120
	;; [unrolled: 1-line block ×4, first 2 shown]
	ds_load_2addr_b64 v[36:39], v63 offset1:70
	s_wait_loadcnt_dscnt 0x400
	v_mul_f32_e32 v72, v37, v41
	s_wait_loadcnt 0x3
	v_dual_mul_f32 v73, v36, v41 :: v_dual_mul_f32 v74, v39, v43
	v_mul_f32_e32 v41, v38, v43
	s_delay_alu instid0(VALU_DEP_3) | instskip(NEXT) | instid1(VALU_DEP_3)
	v_fma_f32 v72, v36, v40, -v72
	v_fmac_f32_e32 v73, v37, v40
	s_delay_alu instid0(VALU_DEP_4) | instskip(NEXT) | instid1(VALU_DEP_4)
	v_fma_f32 v40, v38, v42, -v74
	v_fmac_f32_e32 v41, v39, v42
	ds_store_2addr_b64 v63, v[72:73], v[40:41] offset1:70
	ds_load_2addr_b64 v[36:39], v63 offset0:140 offset1:210
	ds_load_b64 v[40:41], v63 offset:2240
	s_wait_loadcnt_dscnt 0x201
	v_mul_f32_e32 v42, v37, v47
	s_wait_loadcnt 0x1
	v_dual_mul_f32 v43, v36, v47 :: v_dual_mul_f32 v72, v39, v69
	v_mul_f32_e32 v47, v38, v69
	s_wait_loadcnt_dscnt 0x0
	v_mul_f32_e32 v73, v41, v71
	v_mul_f32_e32 v69, v40, v71
	v_fma_f32 v42, v36, v46, -v42
	v_fmac_f32_e32 v43, v37, v46
	v_fma_f32 v46, v38, v68, -v72
	v_fmac_f32_e32 v47, v39, v68
	;; [unrolled: 2-line block ×3, first 2 shown]
	ds_store_2addr_b64 v63, v[42:43], v[46:47] offset0:140 offset1:210
	ds_store_b64 v63, v[68:69] offset:2240
	s_and_saveexec_b32 s1, vcc_lo
	s_cbranch_execz .LBB0_13
; %bb.12:
	s_wait_alu 0xfffe
	v_add_co_u32 v36, s2, s2, v63
	s_wait_alu 0xf1ff
	v_add_co_ci_u32_e64 v37, null, s3, 0, s2
	s_clause 0x4
	global_load_b64 v[46:47], v[36:37], off offset:400
	global_load_b64 v[68:69], v[36:37], off offset:960
	;; [unrolled: 1-line block ×5, first 2 shown]
	v_add_nc_u32_e32 v80, 0x400, v63
	ds_load_2addr_b64 v[36:39], v63 offset0:50 offset1:120
	ds_load_2addr_b64 v[40:43], v80 offset0:62 offset1:132
	ds_load_b64 v[76:77], v63 offset:2640
	s_wait_loadcnt_dscnt 0x402
	v_mul_f32_e32 v78, v37, v47
	v_mul_f32_e32 v79, v36, v47
	s_wait_loadcnt 0x3
	v_mul_f32_e32 v47, v38, v69
	s_wait_loadcnt_dscnt 0x201
	v_dual_mul_f32 v81, v39, v69 :: v_dual_mul_f32 v82, v41, v71
	s_wait_loadcnt 0x1
	v_mul_f32_e32 v83, v43, v73
	v_mul_f32_e32 v69, v40, v71
	s_wait_loadcnt_dscnt 0x0
	v_dual_mul_f32 v71, v42, v73 :: v_dual_mul_f32 v84, v77, v75
	v_mul_f32_e32 v73, v76, v75
	v_fma_f32 v78, v36, v46, -v78
	v_fmac_f32_e32 v79, v37, v46
	v_fma_f32 v46, v38, v68, -v81
	v_fmac_f32_e32 v47, v39, v68
	;; [unrolled: 2-line block ×5, first 2 shown]
	ds_store_2addr_b64 v63, v[78:79], v[46:47] offset0:50 offset1:120
	ds_store_2addr_b64 v80, v[68:69], v[70:71] offset0:62 offset1:132
	ds_store_b64 v63, v[72:73] offset:2640
.LBB0_13:
	s_wait_alu 0xfffe
	s_or_b32 exec_lo, exec_lo, s1
	global_wb scope:SCOPE_SE
	s_wait_dscnt 0x0
	s_barrier_signal -1
	s_barrier_wait -1
	global_inv scope:SCOPE_SE
	ds_load_2addr_b64 v[36:39], v63 offset1:70
	ds_load_2addr_b64 v[40:43], v63 offset0:140 offset1:210
	ds_load_b64 v[46:47], v63 offset:2240
	s_and_saveexec_b32 s1, vcc_lo
	s_cbranch_execz .LBB0_15
; %bb.14:
	v_add_nc_u32_e32 v32, 0x400, v63
	ds_load_2addr_b64 v[28:31], v63 offset0:50 offset1:120
	ds_load_2addr_b64 v[32:35], v32 offset0:62 offset1:132
	ds_load_b64 v[44:45], v63 offset:2640
.LBB0_15:
	s_wait_alu 0xfffe
	s_or_b32 exec_lo, exec_lo, s1
	s_wait_dscnt 0x1
	v_dual_add_f32 v68, v40, v42 :: v_dual_sub_f32 v71, v41, v43
	s_wait_dscnt 0x0
	v_dual_add_f32 v69, v36, v38 :: v_dual_sub_f32 v70, v39, v47
	global_wb scope:SCOPE_SE
	v_fma_f32 v72, -0.5, v68, v36
	v_dual_sub_f32 v68, v46, v42 :: v_dual_add_f32 v69, v69, v40
	v_sub_f32_e32 v73, v38, v40
	v_add_f32_e32 v75, v38, v46
	s_delay_alu instid0(VALU_DEP_4) | instskip(SKIP_2) | instid1(VALU_DEP_4)
	v_dual_sub_f32 v77, v40, v38 :: v_dual_fmamk_f32 v74, v70, 0xbf737871, v72
	v_fmac_f32_e32 v72, 0x3f737871, v70
	v_sub_f32_e32 v40, v40, v42
	v_fma_f32 v76, -0.5, v75, v36
	v_add_f32_e32 v36, v69, v42
	v_dual_fmac_f32 v74, 0xbf167918, v71 :: v_dual_sub_f32 v69, v42, v46
	v_fmac_f32_e32 v72, 0x3f167918, v71
	s_delay_alu instid0(VALU_DEP_4)
	v_fmamk_f32 v78, v71, 0x3f737871, v76
	v_sub_f32_e32 v38, v38, v46
	v_fmac_f32_e32 v76, 0xbf737871, v71
	v_add_f32_e32 v71, v41, v43
	v_add_f32_e32 v68, v73, v68
	v_dual_add_f32 v69, v77, v69 :: v_dual_fmac_f32 v78, 0xbf167918, v70
	v_sub_f32_e32 v42, v39, v41
	s_delay_alu instid0(VALU_DEP_4)
	v_fma_f32 v73, -0.5, v71, v37
	v_add_f32_e32 v80, v36, v46
	v_add_f32_e32 v46, v39, v47
	v_sub_f32_e32 v83, v45, v35
	s_barrier_signal -1
	s_barrier_wait -1
	global_inv scope:SCOPE_SE
	v_fma_f32 v77, -0.5, v46, v37
	v_sub_f32_e32 v71, v30, v44
	v_dual_sub_f32 v85, v35, v45 :: v_dual_sub_f32 v84, v33, v31
	s_delay_alu instid0(VALU_DEP_3)
	v_fmamk_f32 v79, v40, 0xbf737871, v77
	v_fmamk_f32 v75, v38, 0x3f737871, v73
	v_dual_fmac_f32 v73, 0xbf737871, v38 :: v_dual_add_f32 v36, v37, v39
	v_dual_fmac_f32 v76, 0x3f167918, v70 :: v_dual_sub_f32 v37, v41, v39
	v_sub_f32_e32 v39, v43, v47
	v_dual_fmac_f32 v79, 0x3f167918, v38 :: v_dual_sub_f32 v70, v31, v33
	s_delay_alu instid0(VALU_DEP_2) | instskip(SKIP_3) | instid1(VALU_DEP_3)
	v_add_f32_e32 v37, v37, v39
	v_dual_fmac_f32 v73, 0xbf167918, v40 :: v_dual_add_f32 v36, v36, v41
	v_fmac_f32_e32 v75, 0x3f167918, v40
	v_dual_fmac_f32 v72, 0x3e9e377a, v68 :: v_dual_add_f32 v41, v32, v34
	v_dual_fmac_f32 v77, 0x3f737871, v40 :: v_dual_add_f32 v36, v36, v43
	v_fmac_f32_e32 v74, 0x3e9e377a, v68
	v_dual_sub_f32 v68, v47, v43 :: v_dual_add_f32 v39, v30, v44
	v_sub_f32_e32 v43, v31, v45
	s_delay_alu instid0(VALU_DEP_4) | instskip(NEXT) | instid1(VALU_DEP_3)
	v_add_f32_e32 v81, v36, v47
	v_dual_sub_f32 v47, v33, v35 :: v_dual_add_f32 v36, v42, v68
	v_fma_f32 v42, -0.5, v41, v28
	v_dual_sub_f32 v41, v30, v32 :: v_dual_sub_f32 v46, v44, v34
	v_fmac_f32_e32 v79, 0x3e9e377a, v37
	v_fma_f32 v40, -0.5, v39, v28
	v_dual_fmac_f32 v78, 0x3e9e377a, v69 :: v_dual_fmac_f32 v75, 0x3e9e377a, v36
	v_dual_fmac_f32 v76, 0x3e9e377a, v69 :: v_dual_fmac_f32 v73, 0x3e9e377a, v36
	v_dual_fmamk_f32 v36, v43, 0x3f737871, v42 :: v_dual_sub_f32 v39, v32, v30
	v_fmac_f32_e32 v77, 0xbf167918, v38
	v_dual_add_f32 v46, v41, v46 :: v_dual_sub_f32 v41, v34, v44
	v_fmamk_f32 v38, v47, 0x3f737871, v40
	s_delay_alu instid0(VALU_DEP_4) | instskip(SKIP_1) | instid1(VALU_DEP_4)
	v_fmac_f32_e32 v36, 0x3f167918, v47
	v_dual_fmac_f32 v40, 0xbf737871, v47 :: v_dual_sub_f32 v69, v32, v34
	v_add_f32_e32 v82, v39, v41
	s_delay_alu instid0(VALU_DEP_4) | instskip(NEXT) | instid1(VALU_DEP_4)
	v_dual_fmac_f32 v38, 0xbf167918, v43 :: v_dual_add_f32 v39, v31, v45
	v_dual_fmac_f32 v77, 0x3e9e377a, v37 :: v_dual_fmac_f32 v36, 0x3e9e377a, v46
	v_add_f32_e32 v37, v33, v35
	v_fmac_f32_e32 v40, 0x3f167918, v43
	s_delay_alu instid0(VALU_DEP_4) | instskip(SKIP_3) | instid1(VALU_DEP_4)
	v_fma_f32 v41, -0.5, v39, v29
	v_dual_add_f32 v70, v70, v83 :: v_dual_add_f32 v83, v84, v85
	v_fmac_f32_e32 v38, 0x3e9e377a, v82
	v_fma_f32 v68, -0.5, v37, v29
	v_fmamk_f32 v39, v69, 0xbf737871, v41
	v_fmac_f32_e32 v41, 0x3f737871, v69
	ds_store_2addr_b64 v66, v[80:81], v[74:75] offset1:1
	ds_store_2addr_b64 v66, v[78:79], v[76:77] offset0:2 offset1:3
	ds_store_b64 v66, v[72:73] offset:32
	v_fmamk_f32 v37, v71, 0xbf737871, v68
	v_fmac_f32_e32 v39, 0x3f167918, v71
	v_fmac_f32_e32 v41, 0xbf167918, v71
	;; [unrolled: 1-line block ×3, first 2 shown]
	s_delay_alu instid0(VALU_DEP_4) | instskip(NEXT) | instid1(VALU_DEP_4)
	v_fmac_f32_e32 v37, 0xbf167918, v69
	v_fmac_f32_e32 v39, 0x3e9e377a, v83
	s_delay_alu instid0(VALU_DEP_4) | instskip(NEXT) | instid1(VALU_DEP_3)
	v_fmac_f32_e32 v41, 0x3e9e377a, v83
	v_fmac_f32_e32 v37, 0x3e9e377a, v70
	s_and_saveexec_b32 s1, vcc_lo
	s_cbranch_execz .LBB0_17
; %bb.16:
	v_dual_mul_f32 v43, 0x3f737871, v43 :: v_dual_add_f32 v28, v28, v30
	v_dual_add_f32 v29, v29, v31 :: v_dual_mul_f32 v46, 0x3e9e377a, v46
	v_mul_f32_e32 v66, 0x3f737871, v71
	v_dual_mul_f32 v47, 0x3f167918, v47 :: v_dual_mul_f32 v30, 0x3f167918, v69
	s_delay_alu instid0(VALU_DEP_3) | instskip(SKIP_1) | instid1(VALU_DEP_4)
	v_add_f32_e32 v29, v29, v33
	v_dual_sub_f32 v33, v42, v43 :: v_dual_add_f32 v28, v28, v32
	v_dual_add_f32 v31, v66, v68 :: v_dual_mul_f32 v32, 0x3e9e377a, v70
	s_delay_alu instid0(VALU_DEP_2) | instskip(NEXT) | instid1(VALU_DEP_2)
	v_add_f32_e32 v34, v28, v34
	v_add_f32_e32 v30, v30, v31
	;; [unrolled: 1-line block ×3, first 2 shown]
	v_sub_f32_e32 v33, v33, v47
	s_delay_alu instid0(VALU_DEP_2) | instskip(NEXT) | instid1(VALU_DEP_4)
	v_add_f32_e32 v31, v31, v45
	v_dual_add_f32 v29, v32, v30 :: v_dual_add_f32 v30, v34, v44
	s_delay_alu instid0(VALU_DEP_3)
	v_add_f32_e32 v28, v46, v33
	v_lshlrev_b32_e32 v32, 3, v65
	ds_store_2addr_b64 v32, v[30:31], v[28:29] offset1:1
	ds_store_2addr_b64 v32, v[38:39], v[40:41] offset0:2 offset1:3
	ds_store_b64 v32, v[36:37] offset:32
.LBB0_17:
	s_wait_alu 0xfffe
	s_or_b32 exec_lo, exec_lo, s1
	global_wb scope:SCOPE_SE
	s_wait_dscnt 0x0
	s_barrier_signal -1
	s_barrier_wait -1
	global_inv scope:SCOPE_SE
	ds_load_2addr_b64 v[28:31], v63 offset1:50
	ds_load_2addr_b64 v[32:35], v63 offset0:100 offset1:150
	ds_load_2addr_b64 v[42:45], v63 offset0:200 offset1:250
	ds_load_b64 v[46:47], v63 offset:2400
	global_wb scope:SCOPE_SE
	s_wait_dscnt 0x0
	s_barrier_signal -1
	s_barrier_wait -1
	global_inv scope:SCOPE_SE
	v_dual_mul_f32 v65, v9, v31 :: v_dual_mul_f32 v66, v11, v33
	v_mul_f32_e32 v9, v9, v30
	v_dual_mul_f32 v11, v11, v32 :: v_dual_mul_f32 v68, v5, v35
	v_dual_mul_f32 v69, v7, v43 :: v_dual_mul_f32 v70, v1, v45
	v_mul_f32_e32 v1, v1, v44
	v_mul_f32_e32 v5, v5, v34
	s_delay_alu instid0(VALU_DEP_4)
	v_dual_mul_f32 v71, v3, v47 :: v_dual_fmac_f32 v68, v4, v34
	v_fmac_f32_e32 v66, v10, v32
	v_fmac_f32_e32 v70, v0, v44
	v_fma_f32 v0, v0, v45, -v1
	v_fmac_f32_e32 v65, v8, v30
	v_fma_f32 v8, v8, v31, -v9
	v_fma_f32 v9, v10, v33, -v11
	v_mul_f32_e32 v3, v3, v46
	v_fmac_f32_e32 v71, v2, v46
	v_fma_f32 v4, v4, v35, -v5
	v_sub_f32_e32 v10, v66, v70
	s_delay_alu instid0(VALU_DEP_4) | instskip(NEXT) | instid1(VALU_DEP_1)
	v_fma_f32 v2, v2, v47, -v3
	v_add_f32_e32 v5, v8, v2
	v_sub_f32_e32 v2, v8, v2
	v_add_f32_e32 v8, v9, v0
	v_dual_sub_f32 v0, v9, v0 :: v_dual_mul_f32 v7, v7, v42
	v_add_f32_e32 v1, v65, v71
	s_delay_alu instid0(VALU_DEP_2) | instskip(SKIP_2) | instid1(VALU_DEP_3)
	v_fma_f32 v3, v6, v43, -v7
	v_add_f32_e32 v7, v66, v70
	v_fmac_f32_e32 v69, v6, v42
	v_add_f32_e32 v11, v4, v3
	v_sub_f32_e32 v3, v3, v4
	s_delay_alu instid0(VALU_DEP_4) | instskip(NEXT) | instid1(VALU_DEP_4)
	v_add_f32_e32 v4, v7, v1
	v_sub_f32_e32 v30, v69, v68
	v_sub_f32_e32 v6, v65, v71
	s_delay_alu instid0(VALU_DEP_2) | instskip(NEXT) | instid1(VALU_DEP_1)
	v_dual_sub_f32 v42, v30, v10 :: v_dual_add_f32 v9, v68, v69
	v_sub_f32_e32 v34, v1, v9
	v_sub_f32_e32 v32, v7, v1
	v_add_f32_e32 v31, v8, v5
	v_dual_sub_f32 v33, v8, v5 :: v_dual_sub_f32 v8, v11, v8
	v_add_f32_e32 v4, v9, v4
	v_sub_f32_e32 v7, v9, v7
	v_add_f32_e32 v1, v30, v10
	v_dual_sub_f32 v30, v6, v30 :: v_dual_add_f32 v35, v3, v0
	v_sub_f32_e32 v5, v5, v11
	v_dual_sub_f32 v43, v3, v0 :: v_dual_sub_f32 v10, v10, v6
	v_add_f32_e32 v9, v11, v31
	v_sub_f32_e32 v11, v0, v2
	v_dual_add_f32 v0, v28, v4 :: v_dual_sub_f32 v3, v2, v3
	v_mul_f32_e32 v28, 0x3f4a47b2, v34
	v_mul_f32_e32 v34, 0x3f08b237, v42
	;; [unrolled: 1-line block ×3, first 2 shown]
	s_delay_alu instid0(VALU_DEP_4)
	v_fmamk_f32 v4, v4, 0xbf955555, v0
	v_add_f32_e32 v6, v1, v6
	v_dual_add_f32 v2, v35, v2 :: v_dual_mul_f32 v5, 0x3f4a47b2, v5
	v_add_f32_e32 v1, v29, v9
	v_mul_f32_e32 v31, 0x3d64c772, v8
	v_fma_f32 v10, 0xbf5ff5aa, v10, -v34
	s_delay_alu instid0(VALU_DEP_4) | instskip(NEXT) | instid1(VALU_DEP_4)
	v_fmamk_f32 v8, v8, 0x3d64c772, v5
	v_fmamk_f32 v9, v9, 0xbf955555, v1
	v_mul_f32_e32 v29, 0x3d64c772, v7
	v_fmamk_f32 v7, v7, 0x3d64c772, v28
	v_fma_f32 v28, 0xbf3bfb3b, v32, -v28
	v_mul_f32_e32 v35, 0x3f08b237, v43
	v_fma_f32 v31, 0x3f3bfb3b, v33, -v31
	v_fma_f32 v29, 0x3f3bfb3b, v32, -v29
	v_fmamk_f32 v32, v30, 0xbeae86e6, v34
	v_dual_add_f32 v28, v28, v4 :: v_dual_mul_f32 v43, 0xbf5ff5aa, v11
	v_fma_f32 v11, 0xbf5ff5aa, v11, -v35
	v_fma_f32 v30, 0x3eae86e6, v30, -v42
	v_add_f32_e32 v42, v8, v9
	v_add_f32_e32 v8, v29, v4
	v_fma_f32 v5, 0xbf3bfb3b, v33, -v5
	v_fmamk_f32 v33, v3, 0xbeae86e6, v35
	v_fma_f32 v34, 0x3eae86e6, v3, -v43
	v_dual_add_f32 v35, v7, v4 :: v_dual_fmac_f32 v32, 0xbee1c552, v6
	v_fmac_f32_e32 v10, 0xbee1c552, v6
	s_delay_alu instid0(VALU_DEP_4) | instskip(SKIP_1) | instid1(VALU_DEP_4)
	v_fmac_f32_e32 v33, 0xbee1c552, v2
	v_fmac_f32_e32 v11, 0xbee1c552, v2
	v_dual_fmac_f32 v34, 0xbee1c552, v2 :: v_dual_sub_f32 v3, v42, v32
	v_fmac_f32_e32 v30, 0xbee1c552, v6
	s_delay_alu instid0(VALU_DEP_4) | instskip(NEXT) | instid1(VALU_DEP_4)
	v_add_f32_e32 v2, v33, v35
	v_dual_sub_f32 v6, v8, v11 :: v_dual_add_f32 v29, v31, v9
	s_delay_alu instid0(VALU_DEP_4) | instskip(NEXT) | instid1(VALU_DEP_2)
	v_dual_add_f32 v31, v5, v9 :: v_dual_add_f32 v4, v34, v28
	v_add_f32_e32 v7, v10, v29
	v_sub_f32_e32 v9, v29, v10
	v_sub_f32_e32 v10, v28, v34
	;; [unrolled: 1-line block ×3, first 2 shown]
	v_add_f32_e32 v8, v11, v8
	v_sub_f32_e32 v5, v31, v30
	v_add_f32_e32 v11, v30, v31
	v_add_f32_e32 v29, v32, v42
	ds_store_2addr_b64 v67, v[0:1], v[2:3] offset1:5
	ds_store_2addr_b64 v67, v[4:5], v[6:7] offset0:10 offset1:15
	ds_store_2addr_b64 v67, v[8:9], v[10:11] offset0:20 offset1:25
	ds_store_b64 v67, v[28:29] offset:240
	global_wb scope:SCOPE_SE
	s_wait_dscnt 0x0
	s_barrier_signal -1
	s_barrier_wait -1
	global_inv scope:SCOPE_SE
	s_and_saveexec_b32 s1, s0
	s_cbranch_execz .LBB0_19
; %bb.18:
	v_add_nc_u32_e32 v0, 0x800, v63
	ds_load_2addr_b64 v[28:31], v63 offset0:210 offset1:245
	ds_load_2addr_b64 v[34:37], v0 offset0:24 offset1:59
	ds_load_2addr_b64 v[0:3], v63 offset1:35
	ds_load_2addr_b64 v[4:7], v63 offset0:70 offset1:105
	ds_load_2addr_b64 v[8:11], v63 offset0:140 offset1:175
	s_wait_dscnt 0x4
	v_dual_mov_b32 v39, v31 :: v_dual_mov_b32 v38, v30
	s_wait_dscnt 0x3
	v_dual_mov_b32 v41, v35 :: v_dual_mov_b32 v40, v34
.LBB0_19:
	s_wait_alu 0xfffe
	s_or_b32 exec_lo, exec_lo, s1
	s_and_saveexec_b32 s1, s0
	s_cbranch_execz .LBB0_21
; %bb.20:
	s_wait_dscnt 0x0
	v_mul_f32_e32 v30, v15, v8
	v_mul_f32_e32 v32, v19, v4
	;; [unrolled: 1-line block ×3, first 2 shown]
	s_delay_alu instid0(VALU_DEP_3) | instskip(NEXT) | instid1(VALU_DEP_3)
	v_fma_f32 v30, v14, v9, -v30
	v_fma_f32 v5, v18, v5, -v32
	v_mul_f32_e32 v31, v27, v28
	s_delay_alu instid0(VALU_DEP_4) | instskip(SKIP_1) | instid1(VALU_DEP_4)
	v_fmac_f32_e32 v19, v18, v4
	v_mul_f32_e32 v9, v15, v9
	v_dual_mul_f32 v15, v27, v29 :: v_dual_sub_f32 v4, v5, v30
	s_delay_alu instid0(VALU_DEP_4) | instskip(SKIP_3) | instid1(VALU_DEP_3)
	v_fma_f32 v31, v26, v29, -v31
	v_mul_f32_e32 v33, v23, v40
	v_mul_f32_e32 v29, v13, v7
	;; [unrolled: 1-line block ×3, first 2 shown]
	v_fma_f32 v32, v22, v41, -v33
	v_add_f32_e32 v33, v31, v30
	s_delay_alu instid0(VALU_DEP_4) | instskip(SKIP_4) | instid1(VALU_DEP_3)
	v_fmac_f32_e32 v29, v12, v6
	v_fmac_f32_e32 v9, v14, v8
	v_mul_f32_e32 v14, v62, v37
	v_mul_f32_e32 v8, v25, v10
	v_dual_sub_f32 v18, v32, v31 :: v_dual_sub_f32 v41, v31, v32
	v_fmac_f32_e32 v14, v61, v36
	v_dual_fmac_f32 v15, v26, v28 :: v_dual_mul_f32 v26, v21, v39
	v_fmac_f32_e32 v23, v22, v40
	v_fma_f32 v22, -0.5, v33, v1
	v_mul_f32_e32 v33, v25, v11
	v_fma_f32 v8, v24, v11, -v8
	v_fmac_f32_e32 v26, v20, v38
	v_mul_f32_e32 v11, v17, v2
	s_delay_alu instid0(VALU_DEP_4) | instskip(SKIP_1) | instid1(VALU_DEP_1)
	v_fmac_f32_e32 v33, v24, v10
	v_dual_mul_f32 v10, v21, v38 :: v_dual_sub_f32 v27, v19, v23
	v_fma_f32 v10, v20, v39, -v10
	v_mul_f32_e32 v21, v17, v3
	v_fma_f32 v3, v16, v3, -v11
	v_sub_f32_e32 v39, v30, v5
	s_delay_alu instid0(VALU_DEP_3) | instskip(SKIP_1) | instid1(VALU_DEP_3)
	v_fmac_f32_e32 v21, v16, v2
	v_mul_f32_e32 v2, v13, v6
	v_dual_mul_f32 v6, v62, v36 :: v_dual_add_f32 v39, v41, v39
	s_delay_alu instid0(VALU_DEP_2) | instskip(NEXT) | instid1(VALU_DEP_2)
	v_fma_f32 v7, v12, v7, -v2
	v_fma_f32 v12, v61, v37, -v6
	s_delay_alu instid0(VALU_DEP_1) | instskip(SKIP_3) | instid1(VALU_DEP_2)
	v_dual_sub_f32 v43, v8, v7 :: v_dual_sub_f32 v16, v7, v12
	v_sub_f32_e32 v6, v29, v14
	v_add_f32_e32 v11, v8, v10
	v_sub_f32_e32 v20, v12, v10
	v_fma_f32 v11, -0.5, v11, v3
	s_delay_alu instid0(VALU_DEP_1) | instskip(NEXT) | instid1(VALU_DEP_1)
	v_dual_sub_f32 v17, v7, v8 :: v_dual_fmamk_f32 v24, v6, 0xbf737871, v11
	v_dual_sub_f32 v28, v14, v26 :: v_dual_add_f32 v17, v17, v20
	v_sub_f32_e32 v35, v8, v10
	v_dual_sub_f32 v25, v33, v26 :: v_dual_fmamk_f32 v20, v27, 0xbf737871, v22
	v_fmac_f32_e32 v11, 0x3f737871, v6
	s_delay_alu instid0(VALU_DEP_2) | instskip(SKIP_3) | instid1(VALU_DEP_4)
	v_fmac_f32_e32 v24, 0xbf167918, v25
	v_sub_f32_e32 v2, v29, v33
	v_add_f32_e32 v13, v33, v26
	v_sub_f32_e32 v36, v9, v15
	v_fmac_f32_e32 v24, 0x3e9e377a, v17
	s_delay_alu instid0(VALU_DEP_4) | instskip(NEXT) | instid1(VALU_DEP_4)
	v_add_f32_e32 v28, v2, v28
	v_fma_f32 v13, -0.5, v13, v21
	s_delay_alu instid0(VALU_DEP_4) | instskip(NEXT) | instid1(VALU_DEP_4)
	v_fmac_f32_e32 v20, 0xbf167918, v36
	v_mul_f32_e32 v37, 0xbf4f1bbd, v24
	v_mul_f32_e32 v24, 0xbf167918, v24
	s_delay_alu instid0(VALU_DEP_4) | instskip(SKIP_1) | instid1(VALU_DEP_2)
	v_fmamk_f32 v34, v16, 0x3f737871, v13
	v_fmac_f32_e32 v13, 0xbf737871, v16
	v_dual_fmac_f32 v34, 0x3f167918, v35 :: v_dual_fmac_f32 v11, 0x3f167918, v25
	s_delay_alu instid0(VALU_DEP_1) | instskip(SKIP_1) | instid1(VALU_DEP_2)
	v_fmac_f32_e32 v34, 0x3e9e377a, v28
	v_add_f32_e32 v18, v18, v4
	v_dual_add_f32 v4, v32, v5 :: v_dual_fmac_f32 v37, 0x3f167918, v34
	s_delay_alu instid0(VALU_DEP_2) | instskip(NEXT) | instid1(VALU_DEP_2)
	v_fmac_f32_e32 v20, 0x3e9e377a, v18
	v_fma_f32 v42, -0.5, v4, v1
	v_dual_add_f32 v38, v7, v12 :: v_dual_fmac_f32 v11, 0x3e9e377a, v17
	v_add_f32_e32 v1, v5, v1
	v_sub_f32_e32 v5, v5, v32
	s_delay_alu instid0(VALU_DEP_4) | instskip(NEXT) | instid1(VALU_DEP_4)
	v_fmamk_f32 v61, v36, 0x3f737871, v42
	v_fma_f32 v38, -0.5, v38, v3
	v_sub_f32_e32 v2, v20, v37
	v_fmac_f32_e32 v42, 0xbf737871, v36
	v_mul_f32_e32 v17, 0x3f4f1bbd, v11
	v_add_f32_e32 v3, v7, v3
	v_dual_fmamk_f32 v45, v25, 0x3f737871, v38 :: v_dual_sub_f32 v44, v10, v12
	v_fmac_f32_e32 v38, 0xbf737871, v25
	v_add_f32_e32 v1, v30, v1
	s_delay_alu instid0(VALU_DEP_4) | instskip(NEXT) | instid1(VALU_DEP_4)
	v_add_f32_e32 v3, v8, v3
	v_fmac_f32_e32 v45, 0xbf167918, v6
	v_dual_add_f32 v40, v29, v14 :: v_dual_add_f32 v43, v43, v44
	v_fmac_f32_e32 v38, 0x3f167918, v6
	v_sub_f32_e32 v8, v19, v9
	v_fmac_f32_e32 v24, 0xbf4f1bbd, v34
	s_delay_alu instid0(VALU_DEP_4) | instskip(SKIP_2) | instid1(VALU_DEP_3)
	v_fma_f32 v40, -0.5, v40, v21
	v_sub_f32_e32 v4, v33, v29
	v_fmac_f32_e32 v38, 0x3e9e377a, v43
	v_dual_fmamk_f32 v47, v35, 0xbf737871, v40 :: v_dual_sub_f32 v46, v26, v14
	v_fmac_f32_e32 v40, 0x3f737871, v35
	v_fmac_f32_e32 v61, 0xbf167918, v27
	s_delay_alu instid0(VALU_DEP_3) | instskip(NEXT) | instid1(VALU_DEP_3)
	v_dual_fmac_f32 v47, 0x3f167918, v16 :: v_dual_add_f32 v4, v4, v46
	v_fmac_f32_e32 v40, 0xbf167918, v16
	s_delay_alu instid0(VALU_DEP_3) | instskip(SKIP_1) | instid1(VALU_DEP_4)
	v_dual_fmac_f32 v61, 0x3e9e377a, v39 :: v_dual_add_f32 v16, v15, v9
	v_fmac_f32_e32 v13, 0xbf167918, v35
	v_fmac_f32_e32 v47, 0x3e9e377a, v4
	s_delay_alu instid0(VALU_DEP_4) | instskip(NEXT) | instid1(VALU_DEP_4)
	v_dual_fmac_f32 v45, 0x3e9e377a, v43 :: v_dual_fmac_f32 v40, 0x3e9e377a, v4
	v_fma_f32 v7, -0.5, v16, v0
	s_delay_alu instid0(VALU_DEP_4) | instskip(NEXT) | instid1(VALU_DEP_1)
	v_dual_fmac_f32 v13, 0x3e9e377a, v28 :: v_dual_sub_f32 v16, v23, v15
	v_dual_fmac_f32 v42, 0x3f167918, v27 :: v_dual_fmac_f32 v17, 0x3f167918, v13
	s_delay_alu instid0(VALU_DEP_1) | instskip(SKIP_1) | instid1(VALU_DEP_4)
	v_dual_mul_f32 v43, 0x3e9e377a, v38 :: v_dual_fmac_f32 v42, 0x3e9e377a, v39
	v_fmac_f32_e32 v22, 0x3f737871, v27
	v_add_f32_e32 v16, v16, v8
	s_delay_alu instid0(VALU_DEP_3) | instskip(SKIP_1) | instid1(VALU_DEP_4)
	v_dual_add_f32 v8, v23, v19 :: v_dual_fmac_f32 v43, 0x3f737871, v40
	v_mul_f32_e32 v41, 0xbe9e377a, v45
	v_dual_fmac_f32 v22, 0x3f167918, v36 :: v_dual_add_f32 v1, v31, v1
	s_delay_alu instid0(VALU_DEP_3) | instskip(NEXT) | instid1(VALU_DEP_3)
	v_sub_f32_e32 v6, v42, v43
	v_fmac_f32_e32 v41, 0x3f737871, v47
	s_delay_alu instid0(VALU_DEP_3)
	v_fmac_f32_e32 v22, 0x3e9e377a, v18
	v_sub_f32_e32 v18, v30, v31
	v_fma_f32 v30, -0.5, v8, v0
	v_add_f32_e32 v27, v32, v1
	v_mul_f32_e32 v32, 0xbf737871, v45
	v_add_f32_e32 v0, v19, v0
	v_sub_f32_e32 v8, v22, v17
	v_fmamk_f32 v31, v18, 0xbf737871, v30
	v_dual_fmac_f32 v30, 0x3f737871, v18 :: v_dual_add_f32 v3, v10, v3
	v_fmamk_f32 v25, v5, 0x3f737871, v7
	s_delay_alu instid0(VALU_DEP_3) | instskip(NEXT) | instid1(VALU_DEP_3)
	v_dual_add_f32 v0, v9, v0 :: v_dual_fmac_f32 v31, 0x3f167918, v5
	v_dual_fmac_f32 v7, 0xbf737871, v5 :: v_dual_add_f32 v28, v12, v3
	s_delay_alu instid0(VALU_DEP_3) | instskip(NEXT) | instid1(VALU_DEP_3)
	v_dual_fmac_f32 v25, 0x3f167918, v18 :: v_dual_sub_f32 v12, v15, v23
	v_dual_sub_f32 v3, v9, v19 :: v_dual_add_f32 v0, v15, v0
	s_delay_alu instid0(VALU_DEP_3) | instskip(NEXT) | instid1(VALU_DEP_3)
	v_fmac_f32_e32 v7, 0xbf167918, v18
	v_fmac_f32_e32 v25, 0x3e9e377a, v16
	;; [unrolled: 1-line block ×3, first 2 shown]
	s_delay_alu instid0(VALU_DEP_4) | instskip(SKIP_2) | instid1(VALU_DEP_3)
	v_dual_add_f32 v3, v12, v3 :: v_dual_add_f32 v12, v29, v21
	v_fmac_f32_e32 v30, 0xbf167918, v5
	v_dual_mul_f32 v21, 0xbf737871, v38 :: v_dual_add_f32 v0, v23, v0
	v_fmac_f32_e32 v31, 0x3e9e377a, v3
	s_delay_alu instid0(VALU_DEP_3) | instskip(NEXT) | instid1(VALU_DEP_3)
	v_dual_add_f32 v9, v33, v12 :: v_dual_fmac_f32 v30, 0x3e9e377a, v3
	v_dual_fmac_f32 v21, 0x3e9e377a, v40 :: v_dual_add_f32 v12, v20, v37
	v_sub_f32_e32 v1, v25, v24
	s_delay_alu instid0(VALU_DEP_3) | instskip(SKIP_1) | instid1(VALU_DEP_4)
	v_dual_add_f32 v3, v26, v9 :: v_dual_mul_f32 v26, 0xbf167918, v11
	v_dual_fmac_f32 v7, 0x3e9e377a, v16 :: v_dual_add_f32 v18, v22, v17
	v_dual_sub_f32 v5, v30, v21 :: v_dual_add_f32 v20, v27, v28
	s_delay_alu instid0(VALU_DEP_3) | instskip(SKIP_2) | instid1(VALU_DEP_3)
	v_dual_add_f32 v11, v14, v3 :: v_dual_fmac_f32 v26, 0x3f4f1bbd, v13
	v_dual_sub_f32 v3, v31, v32 :: v_dual_add_f32 v14, v61, v41
	v_add_f32_e32 v16, v42, v43
	v_add_f32_e32 v19, v0, v11
	s_delay_alu instid0(VALU_DEP_4)
	v_add_f32_e32 v17, v7, v26
	v_add_f32_e32 v13, v31, v32
	v_dual_add_f32 v15, v30, v21 :: v_dual_sub_f32 v10, v27, v28
	v_sub_f32_e32 v9, v0, v11
	v_dual_add_f32 v11, v25, v24 :: v_dual_add_nc_u32 v0, 0x800, v63
	v_dual_sub_f32 v7, v7, v26 :: v_dual_sub_f32 v4, v61, v41
	ds_store_2addr_b64 v63, v[19:20], v[17:18] offset1:35
	ds_store_2addr_b64 v63, v[15:16], v[13:14] offset0:70 offset1:105
	ds_store_2addr_b64 v63, v[11:12], v[9:10] offset0:140 offset1:175
	;; [unrolled: 1-line block ×4, first 2 shown]
.LBB0_21:
	s_wait_alu 0xfffe
	s_or_b32 exec_lo, exec_lo, s1
	global_wb scope:SCOPE_SE
	s_wait_dscnt 0x0
	s_barrier_signal -1
	s_barrier_wait -1
	global_inv scope:SCOPE_SE
	ds_load_2addr_b64 v[0:3], v63 offset1:70
	ds_load_2addr_b64 v[4:7], v63 offset0:140 offset1:210
	ds_load_b64 v[8:9], v63 offset:2240
	v_mad_co_u64_u32 v[20:21], null, s6, v50, 0
	v_mad_co_u64_u32 v[22:23], null, s4, v64, 0
	s_mov_b32 s2, 0xe434a9b1
	s_mov_b32 s3, 0x3f6767dc
	s_delay_alu instid0(VALU_DEP_1)
	v_mad_co_u64_u32 v[24:25], null, s7, v50, v[21:22]
	s_mul_u64 s[6:7], s[4:5], 0x46
	s_wait_alu 0xfffe
	s_lshl_b64 s[6:7], s[6:7], 3
	s_wait_dscnt 0x2
	v_dual_mul_f32 v10, v52, v1 :: v_dual_mul_f32 v13, v54, v2
	v_dual_mul_f32 v11, v52, v0 :: v_dual_mul_f32 v12, v54, v3
	s_delay_alu instid0(VALU_DEP_3)
	v_mad_co_u64_u32 v[25:26], null, s5, v64, v[23:24]
	s_wait_dscnt 0x1
	v_dual_mul_f32 v14, v56, v5 :: v_dual_mul_f32 v17, v58, v6
	v_dual_mul_f32 v15, v56, v4 :: v_dual_mul_f32 v16, v58, v7
	s_wait_dscnt 0x0
	v_mul_f32_e32 v18, v60, v9
	v_dual_mul_f32 v19, v60, v8 :: v_dual_fmac_f32 v12, v53, v2
	v_dual_fmac_f32 v10, v51, v0 :: v_dual_mov_b32 v21, v24
	v_fma_f32 v11, v51, v1, -v11
	v_fma_f32 v13, v53, v3, -v13
	v_fmac_f32_e32 v14, v55, v4
	v_fma_f32 v15, v55, v5, -v15
	v_fmac_f32_e32 v16, v57, v6
	v_fma_f32 v17, v57, v7, -v17
	v_fma_f32 v19, v59, v9, -v19
	v_dual_mov_b32 v23, v25 :: v_dual_fmac_f32 v18, v59, v8
	v_cvt_f64_f32_e32 v[0:1], v10
	v_cvt_f64_f32_e32 v[2:3], v11
	;; [unrolled: 1-line block ×10, first 2 shown]
	v_mul_f64_e32 v[0:1], s[2:3], v[0:1]
	v_mul_f64_e32 v[2:3], s[2:3], v[2:3]
	;; [unrolled: 1-line block ×10, first 2 shown]
	v_cvt_f32_f64_e32 v24, v[0:1]
	v_cvt_f32_f64_e32 v25, v[2:3]
	v_lshlrev_b64_e32 v[0:1], 3, v[20:21]
	v_cvt_f32_f64_e32 v2, v[4:5]
	v_cvt_f32_f64_e32 v3, v[6:7]
	;; [unrolled: 1-line block ×8, first 2 shown]
	v_lshlrev_b64_e32 v[10:11], 3, v[22:23]
	v_add_co_u32 v0, s0, s10, v0
	s_wait_alu 0xf1ff
	v_add_co_ci_u32_e64 v1, s0, s11, v1, s0
	s_delay_alu instid0(VALU_DEP_2) | instskip(SKIP_1) | instid1(VALU_DEP_2)
	v_add_co_u32 v10, s0, v0, v10
	s_wait_alu 0xf1ff
	v_add_co_ci_u32_e64 v11, s0, v1, v11, s0
	s_wait_alu 0xfffe
	s_delay_alu instid0(VALU_DEP_2) | instskip(SKIP_1) | instid1(VALU_DEP_2)
	v_add_co_u32 v12, s0, v10, s6
	s_wait_alu 0xf1ff
	v_add_co_ci_u32_e64 v13, s0, s7, v11, s0
	s_delay_alu instid0(VALU_DEP_2) | instskip(SKIP_1) | instid1(VALU_DEP_2)
	v_add_co_u32 v14, s0, v12, s6
	s_wait_alu 0xf1ff
	v_add_co_ci_u32_e64 v15, s0, s7, v13, s0
	;; [unrolled: 4-line block ×4, first 2 shown]
	s_clause 0x4
	global_store_b64 v[10:11], v[24:25], off
	global_store_b64 v[12:13], v[2:3], off
	global_store_b64 v[14:15], v[4:5], off
	global_store_b64 v[16:17], v[6:7], off
	global_store_b64 v[0:1], v[8:9], off
	s_and_b32 exec_lo, exec_lo, vcc_lo
	s_cbranch_execz .LBB0_23
; %bb.22:
	s_clause 0x4
	global_load_b64 v[10:11], v[48:49], off offset:400
	global_load_b64 v[12:13], v[48:49], off offset:960
	;; [unrolled: 1-line block ×5, first 2 shown]
	v_add_nc_u32_e32 v6, 0x400, v63
	v_mad_co_u64_u32 v[0:1], null, 0xfffff8d0, s4, v[0:1]
	ds_load_2addr_b64 v[2:5], v63 offset0:50 offset1:120
	ds_load_2addr_b64 v[6:9], v6 offset0:62 offset1:132
	ds_load_b64 v[20:21], v63 offset:2640
	s_mul_i32 s0, s5, 0xfffff8d0
	s_wait_alu 0xfffe
	s_sub_co_i32 s0, s0, s4
	s_wait_loadcnt_dscnt 0x402
	s_wait_alu 0xfffe
	v_dual_mul_f32 v22, v3, v11 :: v_dual_add_nc_u32 v1, s0, v1
	s_wait_loadcnt 0x3
	v_mul_f32_e32 v23, v5, v13
	s_wait_loadcnt_dscnt 0x201
	v_dual_mul_f32 v13, v4, v13 :: v_dual_mul_f32 v24, v7, v15
	s_wait_loadcnt 0x1
	v_mul_f32_e32 v25, v9, v17
	s_wait_loadcnt_dscnt 0x0
	v_dual_mul_f32 v17, v8, v17 :: v_dual_mul_f32 v26, v21, v19
	v_mul_f32_e32 v11, v2, v11
	v_mul_f32_e32 v15, v6, v15
	v_dual_mul_f32 v19, v20, v19 :: v_dual_fmac_f32 v22, v2, v10
	s_delay_alu instid0(VALU_DEP_4) | instskip(NEXT) | instid1(VALU_DEP_4)
	v_fmac_f32_e32 v26, v20, v18
	v_fma_f32 v10, v10, v3, -v11
	v_dual_fmac_f32 v23, v4, v12 :: v_dual_fmac_f32 v24, v6, v14
	v_fma_f32 v11, v12, v5, -v13
	v_fma_f32 v12, v14, v7, -v15
	v_fmac_f32_e32 v25, v8, v16
	v_fma_f32 v16, v16, v9, -v17
	v_fma_f32 v20, v18, v21, -v19
	v_cvt_f64_f32_e32 v[2:3], v22
	v_cvt_f64_f32_e32 v[4:5], v10
	;; [unrolled: 1-line block ×10, first 2 shown]
	v_mul_f64_e32 v[2:3], s[2:3], v[2:3]
	v_mul_f64_e32 v[4:5], s[2:3], v[4:5]
	;; [unrolled: 1-line block ×10, first 2 shown]
	v_cvt_f32_f64_e32 v2, v[2:3]
	v_cvt_f32_f64_e32 v3, v[4:5]
	;; [unrolled: 1-line block ×10, first 2 shown]
	v_add_co_u32 v12, vcc_lo, v0, s6
	s_wait_alu 0xfffd
	v_add_co_ci_u32_e32 v13, vcc_lo, s7, v1, vcc_lo
	s_delay_alu instid0(VALU_DEP_2) | instskip(SKIP_1) | instid1(VALU_DEP_2)
	v_add_co_u32 v14, vcc_lo, v12, s6
	s_wait_alu 0xfffd
	v_add_co_ci_u32_e32 v15, vcc_lo, s7, v13, vcc_lo
	s_delay_alu instid0(VALU_DEP_2) | instskip(SKIP_1) | instid1(VALU_DEP_2)
	;; [unrolled: 4-line block ×3, first 2 shown]
	v_add_co_u32 v18, vcc_lo, v16, s6
	s_wait_alu 0xfffd
	v_add_co_ci_u32_e32 v19, vcc_lo, s7, v17, vcc_lo
	global_store_b64 v[0:1], v[2:3], off
	global_store_b64 v[12:13], v[4:5], off
	;; [unrolled: 1-line block ×5, first 2 shown]
.LBB0_23:
	s_nop 0
	s_sendmsg sendmsg(MSG_DEALLOC_VGPRS)
	s_endpgm
	.section	.rodata,"a",@progbits
	.p2align	6, 0x0
	.amdhsa_kernel bluestein_single_back_len350_dim1_sp_op_CI_CI
		.amdhsa_group_segment_fixed_size 2800
		.amdhsa_private_segment_fixed_size 0
		.amdhsa_kernarg_size 104
		.amdhsa_user_sgpr_count 2
		.amdhsa_user_sgpr_dispatch_ptr 0
		.amdhsa_user_sgpr_queue_ptr 0
		.amdhsa_user_sgpr_kernarg_segment_ptr 1
		.amdhsa_user_sgpr_dispatch_id 0
		.amdhsa_user_sgpr_private_segment_size 0
		.amdhsa_wavefront_size32 1
		.amdhsa_uses_dynamic_stack 0
		.amdhsa_enable_private_segment 0
		.amdhsa_system_sgpr_workgroup_id_x 1
		.amdhsa_system_sgpr_workgroup_id_y 0
		.amdhsa_system_sgpr_workgroup_id_z 0
		.amdhsa_system_sgpr_workgroup_info 0
		.amdhsa_system_vgpr_workitem_id 0
		.amdhsa_next_free_vgpr 102
		.amdhsa_next_free_sgpr 16
		.amdhsa_reserve_vcc 1
		.amdhsa_float_round_mode_32 0
		.amdhsa_float_round_mode_16_64 0
		.amdhsa_float_denorm_mode_32 3
		.amdhsa_float_denorm_mode_16_64 3
		.amdhsa_fp16_overflow 0
		.amdhsa_workgroup_processor_mode 1
		.amdhsa_memory_ordered 1
		.amdhsa_forward_progress 0
		.amdhsa_round_robin_scheduling 0
		.amdhsa_exception_fp_ieee_invalid_op 0
		.amdhsa_exception_fp_denorm_src 0
		.amdhsa_exception_fp_ieee_div_zero 0
		.amdhsa_exception_fp_ieee_overflow 0
		.amdhsa_exception_fp_ieee_underflow 0
		.amdhsa_exception_fp_ieee_inexact 0
		.amdhsa_exception_int_div_zero 0
	.end_amdhsa_kernel
	.text
.Lfunc_end0:
	.size	bluestein_single_back_len350_dim1_sp_op_CI_CI, .Lfunc_end0-bluestein_single_back_len350_dim1_sp_op_CI_CI
                                        ; -- End function
	.section	.AMDGPU.csdata,"",@progbits
; Kernel info:
; codeLenInByte = 9072
; NumSgprs: 18
; NumVgprs: 102
; ScratchSize: 0
; MemoryBound: 0
; FloatMode: 240
; IeeeMode: 1
; LDSByteSize: 2800 bytes/workgroup (compile time only)
; SGPRBlocks: 2
; VGPRBlocks: 12
; NumSGPRsForWavesPerEU: 18
; NumVGPRsForWavesPerEU: 102
; Occupancy: 12
; WaveLimiterHint : 1
; COMPUTE_PGM_RSRC2:SCRATCH_EN: 0
; COMPUTE_PGM_RSRC2:USER_SGPR: 2
; COMPUTE_PGM_RSRC2:TRAP_HANDLER: 0
; COMPUTE_PGM_RSRC2:TGID_X_EN: 1
; COMPUTE_PGM_RSRC2:TGID_Y_EN: 0
; COMPUTE_PGM_RSRC2:TGID_Z_EN: 0
; COMPUTE_PGM_RSRC2:TIDIG_COMP_CNT: 0
	.text
	.p2alignl 7, 3214868480
	.fill 96, 4, 3214868480
	.type	__hip_cuid_b4bed43c51605f56,@object ; @__hip_cuid_b4bed43c51605f56
	.section	.bss,"aw",@nobits
	.globl	__hip_cuid_b4bed43c51605f56
__hip_cuid_b4bed43c51605f56:
	.byte	0                               ; 0x0
	.size	__hip_cuid_b4bed43c51605f56, 1

	.ident	"AMD clang version 19.0.0git (https://github.com/RadeonOpenCompute/llvm-project roc-6.4.0 25133 c7fe45cf4b819c5991fe208aaa96edf142730f1d)"
	.section	".note.GNU-stack","",@progbits
	.addrsig
	.addrsig_sym __hip_cuid_b4bed43c51605f56
	.amdgpu_metadata
---
amdhsa.kernels:
  - .args:
      - .actual_access:  read_only
        .address_space:  global
        .offset:         0
        .size:           8
        .value_kind:     global_buffer
      - .actual_access:  read_only
        .address_space:  global
        .offset:         8
        .size:           8
        .value_kind:     global_buffer
      - .actual_access:  read_only
        .address_space:  global
        .offset:         16
        .size:           8
        .value_kind:     global_buffer
      - .actual_access:  read_only
        .address_space:  global
        .offset:         24
        .size:           8
        .value_kind:     global_buffer
      - .actual_access:  read_only
        .address_space:  global
        .offset:         32
        .size:           8
        .value_kind:     global_buffer
      - .offset:         40
        .size:           8
        .value_kind:     by_value
      - .address_space:  global
        .offset:         48
        .size:           8
        .value_kind:     global_buffer
      - .address_space:  global
        .offset:         56
        .size:           8
        .value_kind:     global_buffer
      - .address_space:  global
        .offset:         64
        .size:           8
        .value_kind:     global_buffer
      - .address_space:  global
        .offset:         72
        .size:           8
        .value_kind:     global_buffer
      - .offset:         80
        .size:           4
        .value_kind:     by_value
      - .address_space:  global
        .offset:         88
        .size:           8
        .value_kind:     global_buffer
      - .address_space:  global
        .offset:         96
        .size:           8
        .value_kind:     global_buffer
    .group_segment_fixed_size: 2800
    .kernarg_segment_align: 8
    .kernarg_segment_size: 104
    .language:       OpenCL C
    .language_version:
      - 2
      - 0
    .max_flat_workgroup_size: 50
    .name:           bluestein_single_back_len350_dim1_sp_op_CI_CI
    .private_segment_fixed_size: 0
    .sgpr_count:     18
    .sgpr_spill_count: 0
    .symbol:         bluestein_single_back_len350_dim1_sp_op_CI_CI.kd
    .uniform_work_group_size: 1
    .uses_dynamic_stack: false
    .vgpr_count:     102
    .vgpr_spill_count: 0
    .wavefront_size: 32
    .workgroup_processor_mode: 1
amdhsa.target:   amdgcn-amd-amdhsa--gfx1201
amdhsa.version:
  - 1
  - 2
...

	.end_amdgpu_metadata
